;; amdgpu-corpus repo=ROCm/rocm-libraries kind=compiled arch=gfx90a opt=O3
	.text
	.amdgcn_target "amdgcn-amd-amdhsa--gfx90a"
	.amdhsa_code_object_version 6
	.section	.text._ZN2ckL12flush_icacheEv,"axG",@progbits,_ZN2ckL12flush_icacheEv,comdat
	.globl	_ZN2ckL12flush_icacheEv         ; -- Begin function _ZN2ckL12flush_icacheEv
	.p2align	8
	.type	_ZN2ckL12flush_icacheEv,@function
_ZN2ckL12flush_icacheEv:                ; @_ZN2ckL12flush_icacheEv
; %bb.0:
	;;#ASMSTART
	s_icache_inv 
	s_nop 0 
	s_nop 0 
	;; [unrolled: 1-line block ×16, first 2 shown]
	
	;;#ASMEND
	s_endpgm
	.section	.rodata,"a",@progbits
	.p2align	6, 0x0
	.amdhsa_kernel _ZN2ckL12flush_icacheEv
		.amdhsa_group_segment_fixed_size 0
		.amdhsa_private_segment_fixed_size 0
		.amdhsa_kernarg_size 0
		.amdhsa_user_sgpr_count 4
		.amdhsa_user_sgpr_private_segment_buffer 1
		.amdhsa_user_sgpr_dispatch_ptr 0
		.amdhsa_user_sgpr_queue_ptr 0
		.amdhsa_user_sgpr_kernarg_segment_ptr 0
		.amdhsa_user_sgpr_dispatch_id 0
		.amdhsa_user_sgpr_flat_scratch_init 0
		.amdhsa_user_sgpr_kernarg_preload_length 0
		.amdhsa_user_sgpr_kernarg_preload_offset 0
		.amdhsa_user_sgpr_private_segment_size 0
		.amdhsa_uses_dynamic_stack 0
		.amdhsa_system_sgpr_private_segment_wavefront_offset 0
		.amdhsa_system_sgpr_workgroup_id_x 1
		.amdhsa_system_sgpr_workgroup_id_y 0
		.amdhsa_system_sgpr_workgroup_id_z 0
		.amdhsa_system_sgpr_workgroup_info 0
		.amdhsa_system_vgpr_workitem_id 0
		.amdhsa_next_free_vgpr 1
		.amdhsa_next_free_sgpr 0
		.amdhsa_accum_offset 4
		.amdhsa_reserve_vcc 0
		.amdhsa_reserve_flat_scratch 0
		.amdhsa_float_round_mode_32 0
		.amdhsa_float_round_mode_16_64 0
		.amdhsa_float_denorm_mode_32 3
		.amdhsa_float_denorm_mode_16_64 3
		.amdhsa_dx10_clamp 1
		.amdhsa_ieee_mode 1
		.amdhsa_fp16_overflow 0
		.amdhsa_tg_split 0
		.amdhsa_exception_fp_ieee_invalid_op 0
		.amdhsa_exception_fp_denorm_src 0
		.amdhsa_exception_fp_ieee_div_zero 0
		.amdhsa_exception_fp_ieee_overflow 0
		.amdhsa_exception_fp_ieee_underflow 0
		.amdhsa_exception_fp_ieee_inexact 0
		.amdhsa_exception_int_div_zero 0
	.end_amdhsa_kernel
	.section	.text._ZN2ckL12flush_icacheEv,"axG",@progbits,_ZN2ckL12flush_icacheEv,comdat
.Lfunc_end0:
	.size	_ZN2ckL12flush_icacheEv, .Lfunc_end0-_ZN2ckL12flush_icacheEv
                                        ; -- End function
	.section	.AMDGPU.csdata,"",@progbits
; Kernel info:
; codeLenInByte = 140
; NumSgprs: 4
; NumVgprs: 0
; NumAgprs: 0
; TotalNumVgprs: 0
; ScratchSize: 0
; MemoryBound: 0
; FloatMode: 240
; IeeeMode: 1
; LDSByteSize: 0 bytes/workgroup (compile time only)
; SGPRBlocks: 0
; VGPRBlocks: 0
; NumSGPRsForWavesPerEU: 4
; NumVGPRsForWavesPerEU: 1
; AccumOffset: 4
; Occupancy: 8
; WaveLimiterHint : 0
; COMPUTE_PGM_RSRC2:SCRATCH_EN: 0
; COMPUTE_PGM_RSRC2:USER_SGPR: 4
; COMPUTE_PGM_RSRC2:TRAP_HANDLER: 0
; COMPUTE_PGM_RSRC2:TGID_X_EN: 1
; COMPUTE_PGM_RSRC2:TGID_Y_EN: 0
; COMPUTE_PGM_RSRC2:TGID_Z_EN: 0
; COMPUTE_PGM_RSRC2:TIDIG_COMP_CNT: 0
; COMPUTE_PGM_RSRC3_GFX90A:ACCUM_OFFSET: 0
; COMPUTE_PGM_RSRC3_GFX90A:TG_SPLIT: 0
	.section	.text._Z10DeviceGemmIDF16_N2ck7wrapper48BlockwisGemmXdlTraits_32x32Xdl_4x2XdlPerWave_8K1ELi8ENS0_5TupleIJNS0_17integral_constantIiLi256EEENS4_IiLi128EEENS4_IiLi32EEEEEENS1_6LayoutINS3_IJNS4_IiLi4EEENS4_IiLi64EEENS4_IiLi1EEEEEENS0_16TensorDescriptorINS3_IJNS0_5EmbedISD_NS3_IJSC_SA_SC_EEELb0EEEEEENS3_IJNS0_8SequenceIJLi0EEEEEEENS3_IJNSJ_IJLi1ELi2ELi3EEEEEEESM_NS4_IlLl256EEEEEEELb0EEvPKvSS_PviiiT2_T3_,"axG",@progbits,_Z10DeviceGemmIDF16_N2ck7wrapper48BlockwisGemmXdlTraits_32x32Xdl_4x2XdlPerWave_8K1ELi8ENS0_5TupleIJNS0_17integral_constantIiLi256EEENS4_IiLi128EEENS4_IiLi32EEEEEENS1_6LayoutINS3_IJNS4_IiLi4EEENS4_IiLi64EEENS4_IiLi1EEEEEENS0_16TensorDescriptorINS3_IJNS0_5EmbedISD_NS3_IJSC_SA_SC_EEELb0EEEEEENS3_IJNS0_8SequenceIJLi0EEEEEEENS3_IJNSJ_IJLi1ELi2ELi3EEEEEEESM_NS4_IlLl256EEEEEEELb0EEvPKvSS_PviiiT2_T3_,comdat
	.protected	_Z10DeviceGemmIDF16_N2ck7wrapper48BlockwisGemmXdlTraits_32x32Xdl_4x2XdlPerWave_8K1ELi8ENS0_5TupleIJNS0_17integral_constantIiLi256EEENS4_IiLi128EEENS4_IiLi32EEEEEENS1_6LayoutINS3_IJNS4_IiLi4EEENS4_IiLi64EEENS4_IiLi1EEEEEENS0_16TensorDescriptorINS3_IJNS0_5EmbedISD_NS3_IJSC_SA_SC_EEELb0EEEEEENS3_IJNS0_8SequenceIJLi0EEEEEEENS3_IJNSJ_IJLi1ELi2ELi3EEEEEEESM_NS4_IlLl256EEEEEEELb0EEvPKvSS_PviiiT2_T3_ ; -- Begin function _Z10DeviceGemmIDF16_N2ck7wrapper48BlockwisGemmXdlTraits_32x32Xdl_4x2XdlPerWave_8K1ELi8ENS0_5TupleIJNS0_17integral_constantIiLi256EEENS4_IiLi128EEENS4_IiLi32EEEEEENS1_6LayoutINS3_IJNS4_IiLi4EEENS4_IiLi64EEENS4_IiLi1EEEEEENS0_16TensorDescriptorINS3_IJNS0_5EmbedISD_NS3_IJSC_SA_SC_EEELb0EEEEEENS3_IJNS0_8SequenceIJLi0EEEEEEENS3_IJNSJ_IJLi1ELi2ELi3EEEEEEESM_NS4_IlLl256EEEEEEELb0EEvPKvSS_PviiiT2_T3_
	.globl	_Z10DeviceGemmIDF16_N2ck7wrapper48BlockwisGemmXdlTraits_32x32Xdl_4x2XdlPerWave_8K1ELi8ENS0_5TupleIJNS0_17integral_constantIiLi256EEENS4_IiLi128EEENS4_IiLi32EEEEEENS1_6LayoutINS3_IJNS4_IiLi4EEENS4_IiLi64EEENS4_IiLi1EEEEEENS0_16TensorDescriptorINS3_IJNS0_5EmbedISD_NS3_IJSC_SA_SC_EEELb0EEEEEENS3_IJNS0_8SequenceIJLi0EEEEEEENS3_IJNSJ_IJLi1ELi2ELi3EEEEEEESM_NS4_IlLl256EEEEEEELb0EEvPKvSS_PviiiT2_T3_
	.p2align	8
	.type	_Z10DeviceGemmIDF16_N2ck7wrapper48BlockwisGemmXdlTraits_32x32Xdl_4x2XdlPerWave_8K1ELi8ENS0_5TupleIJNS0_17integral_constantIiLi256EEENS4_IiLi128EEENS4_IiLi32EEEEEENS1_6LayoutINS3_IJNS4_IiLi4EEENS4_IiLi64EEENS4_IiLi1EEEEEENS0_16TensorDescriptorINS3_IJNS0_5EmbedISD_NS3_IJSC_SA_SC_EEELb0EEEEEENS3_IJNS0_8SequenceIJLi0EEEEEEENS3_IJNSJ_IJLi1ELi2ELi3EEEEEEESM_NS4_IlLl256EEEEEEELb0EEvPKvSS_PviiiT2_T3_,@function
_Z10DeviceGemmIDF16_N2ck7wrapper48BlockwisGemmXdlTraits_32x32Xdl_4x2XdlPerWave_8K1ELi8ENS0_5TupleIJNS0_17integral_constantIiLi256EEENS4_IiLi128EEENS4_IiLi32EEEEEENS1_6LayoutINS3_IJNS4_IiLi4EEENS4_IiLi64EEENS4_IiLi1EEEEEENS0_16TensorDescriptorINS3_IJNS0_5EmbedISD_NS3_IJSC_SA_SC_EEELb0EEEEEENS3_IJNS0_8SequenceIJLi0EEEEEEENS3_IJNSJ_IJLi1ELi2ELi3EEEEEEESM_NS4_IlLl256EEEEEEELb0EEvPKvSS_PviiiT2_T3_: ; @_Z10DeviceGemmIDF16_N2ck7wrapper48BlockwisGemmXdlTraits_32x32Xdl_4x2XdlPerWave_8K1ELi8ENS0_5TupleIJNS0_17integral_constantIiLi256EEENS4_IiLi128EEENS4_IiLi32EEEEEENS1_6LayoutINS3_IJNS4_IiLi4EEENS4_IiLi64EEENS4_IiLi1EEEEEENS0_16TensorDescriptorINS3_IJNS0_5EmbedISD_NS3_IJSC_SA_SC_EEELb0EEEEEENS3_IJNS0_8SequenceIJLi0EEEEEEENS3_IJNSJ_IJLi1ELi2ELi3EEEEEEESM_NS4_IlLl256EEEEEEELb0EEvPKvSS_PviiiT2_T3_
; %bb.0:
	s_load_dwordx4 s[0:3], s[4:5], 0x18
	s_add_u32 s20, 0, 0
	v_and_b32_e32 v2, 3, v0
	v_and_b32_e32 v147, 0xfc, v0
	v_lshrrev_b32_e32 v150, 1, v0
	s_waitcnt lgkmcnt(0)
	s_addc_u32 s21, s0, -1
	s_add_u32 s8, 0, 0
	s_addc_u32 s8, s2, -1
	s_mul_i32 s3, s21, s2
	s_add_i32 s8, s8, 1
	s_add_i32 s10, s8, s3
	s_add_u32 s3, 0, 0
	s_addc_u32 s3, s1, -1
	s_add_i32 s9, s1, 0x7f
	s_ashr_i32 s11, s9, 31
	s_lshr_b32 s11, s11, 25
	s_add_i32 s9, s9, s11
	s_addk_i32 s0, 0xff
	s_ashr_i32 s11, s9, 7
	s_ashr_i32 s9, s0, 31
	s_lshr_b32 s9, s9, 24
	s_add_i32 s0, s0, s9
	s_ashr_i32 s0, s0, 8
	s_mul_i32 s9, s11, s0
	s_abs_i32 s9, s9
	v_cvt_f32_u32_e32 v1, s9
	s_mul_i32 s12, s3, s2
	s_add_i32 s12, s8, s12
	s_sub_i32 s8, 0, s9
	v_rcp_iflag_f32_e32 v1, v1
	s_mul_i32 s6, s11, s6
	s_add_i32 s6, s6, s7
	s_ashr_i32 s7, s6, 31
	v_mul_f32_e32 v1, 0x4f7ffffe, v1
	v_cvt_u32_f32_e32 v1, v1
	s_abs_i32 s6, s6
	v_lshlrev_b32_e32 v4, 3, v2
	v_and_b32_e32 v149, 0x7e, v150
	v_readfirstlane_b32 s13, v1
	s_mul_i32 s8, s8, s13
	s_mul_hi_u32 s8, s13, s8
	s_add_i32 s13, s13, s8
	s_mul_hi_u32 s8, s6, s13
	s_mul_i32 s8, s8, s9
	s_sub_i32 s6, s6, s8
	s_sub_i32 s8, s6, s9
	s_cmp_ge_u32 s6, s9
	s_cselect_b32 s6, s8, s6
	s_sub_i32 s8, s6, s9
	s_cmp_ge_u32 s6, s9
	s_cselect_b32 s6, s8, s6
	s_abs_i32 s13, s11
	v_cvt_f32_u32_e32 v1, s13
	s_load_dwordx4 s[16:19], s[4:5], 0x0
	s_load_dwordx2 s[8:9], s[4:5], 0x10
	s_xor_b32 s4, s6, s7
	s_sub_i32 s4, s4, s7
	v_rcp_iflag_f32_e32 v1, v1
	s_sub_i32 s7, 0, s13
	s_abs_i32 s6, s4
	s_xor_b32 s5, s4, s11
	v_mul_f32_e32 v1, 0x4f7ffffe, v1
	v_cvt_u32_f32_e32 v1, v1
	s_ashr_i32 s5, s5, 31
	v_and_b32_e32 v170, 32, v0
	v_mul_u32_u24_e32 v31, 0x808, v2
	v_readfirstlane_b32 s14, v1
	s_mul_i32 s7, s7, s14
	s_mul_hi_u32 s7, s14, s7
	s_add_i32 s14, s14, s7
	s_mul_hi_u32 s7, s6, s14
	s_mul_i32 s14, s7, s13
	s_sub_i32 s6, s6, s14
	s_add_i32 s14, s7, 1
	s_sub_i32 s15, s6, s13
	s_cmp_ge_u32 s6, s13
	s_cselect_b32 s7, s14, s7
	s_cselect_b32 s6, s15, s6
	s_add_i32 s14, s7, 1
	s_cmp_ge_u32 s6, s13
	s_cselect_b32 s6, s14, s7
	s_xor_b32 s6, s6, s5
	s_sub_i32 s5, s6, s5
	s_lshr_b32 s6, s0, 29
	s_add_i32 s6, s0, s6
	s_and_b32 s6, s6, -8
	s_sub_i32 s0, s0, s6
	s_cmp_ge_i32 s5, s6
	s_cselect_b32 s0, s0, 8
	s_abs_i32 s7, s0
	v_cvt_f32_u32_e32 v1, s7
	s_mul_i32 s6, s5, s11
	s_sub_i32 s4, s4, s6
	s_ashr_i32 s6, s5, 31
	v_rcp_iflag_f32_e32 v1, v1
	s_lshr_b32 s6, s6, 29
	s_add_i32 s6, s5, s6
	s_and_b32 s6, s6, -8
	v_mul_f32_e32 v1, 0x4f7ffffe, v1
	v_cvt_u32_f32_e32 v1, v1
	s_sub_i32 s5, s5, s6
	s_sub_i32 s13, 0, s7
	s_mul_i32 s5, s5, s11
	v_readfirstlane_b32 s14, v1
	s_mul_i32 s13, s13, s14
	s_add_i32 s5, s5, s4
	s_mul_hi_u32 s13, s14, s13
	s_abs_i32 s11, s5
	s_add_i32 s14, s14, s13
	s_mul_hi_u32 s13, s11, s14
	s_mul_i32 s14, s13, s7
	s_xor_b32 s4, s5, s0
	s_sub_i32 s11, s11, s14
	s_ashr_i32 s4, s4, 31
	s_add_i32 s14, s13, 1
	s_sub_i32 s15, s11, s7
	s_cmp_ge_u32 s11, s7
	s_cselect_b32 s13, s14, s13
	s_cselect_b32 s11, s15, s11
	s_add_i32 s14, s13, 1
	s_cmp_ge_u32 s11, s7
	s_cselect_b32 s7, s14, s13
	s_xor_b32 s7, s7, s4
	s_sub_i32 s4, s7, s4
	s_mul_i32 s0, s4, s0
	s_sub_i32 s0, s5, s0
	s_add_i32 s6, s6, s0
	s_lshl_b32 s0, s6, 8
	v_add_u32_e32 v1, s0, v147
	s_lshl_b32 s22, s4, 7
	v_mad_u64_u32 v[6:7], s[4:5], v1, s2, v[4:5]
	v_add_u32_e32 v3, s22, v149
	s_lshl_b32 s6, s10, 1
	s_mov_b32 s7, 0x20000
	s_waitcnt lgkmcnt(0)
	s_mov_b32 s4, s16
	s_mov_b32 s5, s17
	v_lshlrev_b32_e32 v1, 1, v6
	v_add_u32_e32 v5, s2, v6
	v_lshlrev_b32_e32 v14, 1, v5
	buffer_load_dwordx4 v[6:9], v1, s[4:7], 0 offen
	buffer_load_dwordx4 v[10:13], v14, s[4:7], 0 offen
	v_add_u32_e32 v1, s2, v5
	v_mad_u64_u32 v[4:5], s[10:11], v3, s2, v[4:5]
	s_lshl_b32 s14, s12, 1
	s_mov_b32 s12, s18
	s_mov_b32 s13, s19
	;; [unrolled: 1-line block ×3, first 2 shown]
	v_lshlrev_b32_e32 v3, 1, v4
	v_add_lshl_u32 v4, v4, s2, 1
	buffer_load_dwordx4 v[14:17], v3, s[12:15], 0 offen
	buffer_load_dwordx4 v[18:21], v4, s[12:15], 0 offen
	v_lshlrev_b32_e32 v3, 1, v1
	v_add_lshl_u32 v1, v1, s2, 1
	buffer_load_dwordx4 v[22:25], v3, s[4:7], 0 offen
	buffer_load_dwordx4 v[26:29], v1, s[4:7], 0 offen
	s_add_i32 s10, s2, 31
	s_ashr_i32 s11, s10, 31
	v_and_b32_e32 v1, 63, v0
	v_lshrrev_b32_e32 v3, 2, v0
	v_lshrrev_b32_e32 v4, 4, v0
	s_lshr_b32 s11, s11, 27
	v_lshlrev_b32_e32 v5, 5, v3
	v_lshlrev_b32_e32 v30, 4, v3
	v_mul_u32_u24_e32 v32, 0x408, v2
	v_sub_u32_e32 v33, v1, v170
	v_and_b32_e32 v35, 2, v4
	v_and_b32_e32 v36, 32, v150
	s_add_i32 s10, s10, s11
	v_and_b32_e32 v34, 32, v3
	v_add_lshl_u32 v151, v5, v31, 1
	v_add_lshl_u32 v3, v30, v32, 1
	v_add_u32_e32 v30, v36, v33
	v_mul_u32_u24_e32 v31, 0x408, v35
	s_ashr_i32 s24, s10, 5
	s_mov_b32 s23, 0
	v_add_u32_e32 v4, v33, v34
	v_mul_u32_u24_e32 v5, 0x808, v35
	s_cmp_gt_i32 s24, 1
	v_lshl_add_u32 v146, v30, 3, v31
	s_waitcnt vmcnt(3)
	ds_write_b128 v3, v[14:17] offset:16400
	s_waitcnt vmcnt(2)
	ds_write_b128 v3, v[18:21] offset:16416
	ds_write_b128 v151, v[6:9]
	ds_write_b128 v151, v[10:13] offset:16
	s_waitcnt vmcnt(1)
	ds_write_b128 v151, v[22:25] offset:32
	s_waitcnt vmcnt(0)
	ds_write_b128 v151, v[26:29] offset:48
	s_cbranch_scc1 .LBB1_2
; %bb.1:
	s_mov_b64 s[18:19], 0
	s_branch .LBB1_3
.LBB1_2:
	s_mov_b64 s[18:19], -1
                                        ; implicit-def: $sgpr23
.LBB1_3:
	s_getpc_b64 s[10:11]
	s_add_u32 s10, s10, _ZN2ck51BlockwiseGemmXdlops_k0mk1_k0nk1_m0n0m1n1m2m3m4n2_v1ILi256EDF16_DF16_fNS_16TensorDescriptorINS_5TupleIJNS_5EmbedINS2_IJNS_17integral_constantIiLi4EEENS4_IiLi256EEENS4_IiLi8EEEEEENS2_IJNS4_IiLi2056EEES7_NS4_IiLi1EEEEEELb0EEEEEENS2_IJNS_8SequenceIJLi0EEEEEEENS2_IJNSE_IJLi1ELi2ELi3EEEEEEESH_NS4_IlLl8216EEEEENS1_INS2_IJNS3_INS2_IJS5_NS4_IiLi128EEES7_EEENS2_IJNS4_IiLi1032EEES7_SA_EEELb0EEEEEESG_SI_SH_NS4_IlLl4120EEEEELi32ELi32ELi4ELi2ELi8EDF16_DF16_E6MWavesE@rel32@lo+4
	s_addc_u32 s11, s11, _ZN2ck51BlockwiseGemmXdlops_k0mk1_k0nk1_m0n0m1n1m2m3m4n2_v1ILi256EDF16_DF16_fNS_16TensorDescriptorINS_5TupleIJNS_5EmbedINS2_IJNS_17integral_constantIiLi4EEENS4_IiLi256EEENS4_IiLi8EEEEEENS2_IJNS4_IiLi2056EEES7_NS4_IiLi1EEEEEELb0EEEEEENS2_IJNS_8SequenceIJLi0EEEEEEENS2_IJNSE_IJLi1ELi2ELi3EEEEEEESH_NS4_IlLl8216EEEEENS1_INS2_IJNS3_INS2_IJS5_NS4_IiLi128EEES7_EEENS2_IJNS4_IiLi1032EEES7_SA_EEELb0EEEEEESG_SI_SH_NS4_IlLl4120EEEEELi32ELi32ELi4ELi2ELi8EDF16_DF16_E6MWavesE@rel32@hi+12
	s_getpc_b64 s[16:17]
	s_add_u32 s16, s16, _ZN2ck51BlockwiseGemmXdlops_k0mk1_k0nk1_m0n0m1n1m2m3m4n2_v1ILi256EDF16_DF16_fNS_16TensorDescriptorINS_5TupleIJNS_5EmbedINS2_IJNS_17integral_constantIiLi4EEENS4_IiLi256EEENS4_IiLi8EEEEEENS2_IJNS4_IiLi2056EEES7_NS4_IiLi1EEEEEELb0EEEEEENS2_IJNS_8SequenceIJLi0EEEEEEENS2_IJNSE_IJLi1ELi2ELi3EEEEEEESH_NS4_IlLl8216EEEEENS1_INS2_IJNS3_INS2_IJS5_NS4_IiLi128EEES7_EEENS2_IJNS4_IiLi1032EEES7_SA_EEELb0EEEEEESG_SI_SH_NS4_IlLl4120EEEEELi32ELi32ELi4ELi2ELi8EDF16_DF16_E6NWavesE@rel32@lo+4
	s_addc_u32 s17, s17, _ZN2ck51BlockwiseGemmXdlops_k0mk1_k0nk1_m0n0m1n1m2m3m4n2_v1ILi256EDF16_DF16_fNS_16TensorDescriptorINS_5TupleIJNS_5EmbedINS2_IJNS_17integral_constantIiLi4EEENS4_IiLi256EEENS4_IiLi8EEEEEENS2_IJNS4_IiLi2056EEES7_NS4_IiLi1EEEEEELb0EEEEEENS2_IJNS_8SequenceIJLi0EEEEEEENS2_IJNSE_IJLi1ELi2ELi3EEEEEEESH_NS4_IlLl8216EEEEENS1_INS2_IJNS3_INS2_IJS5_NS4_IiLi128EEES7_EEENS2_IJNS4_IiLi1032EEES7_SA_EEELb0EEEEEESG_SI_SH_NS4_IlLl4120EEEEELi32ELi32ELi4ELi2ELi8EDF16_DF16_E6NWavesE@rel32@hi+12
	v_lshl_add_u32 v4, v4, 3, v5
	s_andn2_b64 vcc, exec, s[18:19]
	v_lshlrev_b32_e32 v171, 1, v4
	s_cbranch_vccnz .LBB1_6
; %bb.4:
	v_add_u32_e32 v152, 0x4010, v3
	v_mov_b32_e32 v3, 0x4010
	v_mov_b32_e32 v114, 0
	v_lshl_add_u32 v153, v146, 1, v3
	s_add_i32 s18, s24, -1
	s_lshl_b32 s2, s2, 1
	v_add_u32_e32 v154, 3, v147
	v_lshl_or_b32 v148, v2, 4, 64
	v_add_u32_e32 v155, 2, v147
	v_add_u32_e32 v156, 1, v147
	v_add_u32_e32 v157, 1, v149
	v_mov_b32_e32 v158, s0
	v_mov_b32_e32 v159, s22
	v_mov_b32_e32 v115, v114
	v_mov_b32_e32 v116, v114
	v_mov_b32_e32 v117, v114
	v_mov_b32_e32 v118, v114
	v_mov_b32_e32 v119, v114
	v_mov_b32_e32 v120, v114
	v_mov_b32_e32 v121, v114
	v_mov_b32_e32 v122, v114
	v_mov_b32_e32 v123, v114
	v_mov_b32_e32 v124, v114
	v_mov_b32_e32 v125, v114
	v_mov_b32_e32 v126, v114
	v_mov_b32_e32 v127, v114
	v_mov_b32_e32 v128, v114
	v_mov_b32_e32 v129, v114
	v_mov_b32_e32 v98, v114
	v_mov_b32_e32 v99, v114
	v_mov_b32_e32 v100, v114
	v_mov_b32_e32 v101, v114
	v_mov_b32_e32 v102, v114
	v_mov_b32_e32 v103, v114
	v_mov_b32_e32 v104, v114
	v_mov_b32_e32 v105, v114
	v_mov_b32_e32 v106, v114
	v_mov_b32_e32 v107, v114
	v_mov_b32_e32 v108, v114
	v_mov_b32_e32 v109, v114
	v_mov_b32_e32 v110, v114
	v_mov_b32_e32 v111, v114
	v_mov_b32_e32 v112, v114
	v_mov_b32_e32 v113, v114
	v_mov_b32_e32 v66, v114
	v_mov_b32_e32 v67, v114
	v_mov_b32_e32 v68, v114
	v_mov_b32_e32 v69, v114
	v_mov_b32_e32 v70, v114
	v_mov_b32_e32 v71, v114
	v_mov_b32_e32 v72, v114
	v_mov_b32_e32 v73, v114
	v_mov_b32_e32 v74, v114
	v_mov_b32_e32 v75, v114
	v_mov_b32_e32 v76, v114
	v_mov_b32_e32 v77, v114
	v_mov_b32_e32 v78, v114
	v_mov_b32_e32 v79, v114
	v_mov_b32_e32 v80, v114
	v_mov_b32_e32 v81, v114
	v_mov_b32_e32 v82, v114
	v_mov_b32_e32 v83, v114
	v_mov_b32_e32 v84, v114
	v_mov_b32_e32 v85, v114
	v_mov_b32_e32 v86, v114
	v_mov_b32_e32 v87, v114
	v_mov_b32_e32 v88, v114
	v_mov_b32_e32 v89, v114
	v_mov_b32_e32 v90, v114
	v_mov_b32_e32 v91, v114
	v_mov_b32_e32 v92, v114
	v_mov_b32_e32 v93, v114
	v_mov_b32_e32 v94, v114
	v_mov_b32_e32 v95, v114
	v_mov_b32_e32 v96, v114
	v_mov_b32_e32 v97, v114
	v_mov_b32_e32 v50, v114
	v_mov_b32_e32 v51, v114
	v_mov_b32_e32 v52, v114
	v_mov_b32_e32 v53, v114
	v_mov_b32_e32 v54, v114
	v_mov_b32_e32 v55, v114
	v_mov_b32_e32 v56, v114
	v_mov_b32_e32 v57, v114
	v_mov_b32_e32 v58, v114
	v_mov_b32_e32 v59, v114
	v_mov_b32_e32 v60, v114
	v_mov_b32_e32 v61, v114
	v_mov_b32_e32 v62, v114
	v_mov_b32_e32 v63, v114
	v_mov_b32_e32 v64, v114
	v_mov_b32_e32 v65, v114
	v_mov_b32_e32 v34, v114
	v_mov_b32_e32 v35, v114
	v_mov_b32_e32 v36, v114
	v_mov_b32_e32 v37, v114
	v_mov_b32_e32 v38, v114
	v_mov_b32_e32 v39, v114
	v_mov_b32_e32 v40, v114
	v_mov_b32_e32 v41, v114
	v_mov_b32_e32 v42, v114
	v_mov_b32_e32 v43, v114
	v_mov_b32_e32 v44, v114
	v_mov_b32_e32 v45, v114
	v_mov_b32_e32 v46, v114
	v_mov_b32_e32 v47, v114
	v_mov_b32_e32 v48, v114
	v_mov_b32_e32 v49, v114
	v_mov_b32_e32 v2, v114
	v_mov_b32_e32 v3, v114
	v_mov_b32_e32 v4, v114
	v_mov_b32_e32 v5, v114
	v_mov_b32_e32 v6, v114
	v_mov_b32_e32 v7, v114
	v_mov_b32_e32 v8, v114
	v_mov_b32_e32 v9, v114
	v_mov_b32_e32 v10, v114
	v_mov_b32_e32 v11, v114
	v_mov_b32_e32 v12, v114
	v_mov_b32_e32 v13, v114
	v_mov_b32_e32 v14, v114
	v_mov_b32_e32 v15, v114
	v_mov_b32_e32 v16, v114
	v_mov_b32_e32 v17, v114
	v_mov_b32_e32 v18, v114
	v_mov_b32_e32 v19, v114
	v_mov_b32_e32 v20, v114
	v_mov_b32_e32 v21, v114
	v_mov_b32_e32 v22, v114
	v_mov_b32_e32 v23, v114
	v_mov_b32_e32 v24, v114
	v_mov_b32_e32 v25, v114
	v_mov_b32_e32 v26, v114
	v_mov_b32_e32 v27, v114
	v_mov_b32_e32 v28, v114
	v_mov_b32_e32 v29, v114
	v_mov_b32_e32 v30, v114
	v_mov_b32_e32 v31, v114
	v_mov_b32_e32 v32, v114
	v_mov_b32_e32 v33, v114
.LBB1_5:                                ; =>This Inner Loop Header: Depth=1
	v_readfirstlane_b32 s19, v158
	v_add_u32_e32 v130, s19, v147
	v_add_u32_e32 v132, s19, v156
	;; [unrolled: 1-line block ×4, first 2 shown]
	v_mad_u64_u32 v[130:131], s[24:25], s2, v130, v[148:149]
	v_mad_u64_u32 v[134:135], s[24:25], s2, v132, v[148:149]
	;; [unrolled: 1-line block ×4, first 2 shown]
	buffer_load_dwordx4 v[130:133], v130, s[4:7], 0 offen
	s_nop 0
	buffer_load_dwordx4 v[134:137], v134, s[4:7], 0 offen
	s_nop 0
	;; [unrolled: 2-line block ×3, first 2 shown]
	buffer_load_dwordx4 v[142:145], v142, s[4:7], 0 offen
	s_waitcnt lgkmcnt(0)
	s_barrier
	ds_read_b128 v[160:163], v171
	ds_read_b128 v[164:167], v153
	ds_read_b128 v[172:175], v153 offset:1024
	ds_read_b128 v[176:179], v171 offset:1024
	;; [unrolled: 1-line block ×4, first 2 shown]
	s_waitcnt lgkmcnt(4)
	v_mfma_f32_32x32x8f16 v[114:129], v[160:161], v[164:165], v[114:129]
	v_readfirstlane_b32 s19, v159
	s_add_i32 s18, s18, -1
	s_cmp_lg_u32 s18, 0
	s_waitcnt lgkmcnt(3)
	v_mfma_f32_32x32x8f16 v[98:113], v[160:161], v[172:173], v[98:113]
	s_waitcnt lgkmcnt(2)
	v_mfma_f32_32x32x8f16 v[66:81], v[176:177], v[164:165], v[66:81]
	;; [unrolled: 2-line block ×4, first 2 shown]
	v_mfma_f32_32x32x8f16 v[82:97], v[176:177], v[172:173], v[82:97]
	v_mfma_f32_32x32x8f16 v[34:49], v[180:181], v[172:173], v[34:49]
	;; [unrolled: 1-line block ×11, first 2 shown]
	ds_read_b128 v[160:163], v171 offset:4112
	ds_read_b128 v[164:167], v153 offset:2064
	;; [unrolled: 1-line block ×6, first 2 shown]
	s_waitcnt lgkmcnt(4)
	v_mfma_f32_32x32x8f16 v[114:129], v[160:161], v[164:165], v[114:129]
	s_waitcnt lgkmcnt(3)
	v_mfma_f32_32x32x8f16 v[98:113], v[160:161], v[172:173], v[98:113]
	v_add_u32_e32 v160, s19, v149
	v_mad_u64_u32 v[160:161], s[24:25], s2, v160, v[148:149]
	s_waitcnt lgkmcnt(2)
	v_mfma_f32_32x32x8f16 v[66:81], v[176:177], v[164:165], v[66:81]
	s_waitcnt lgkmcnt(1)
	v_mfma_f32_32x32x8f16 v[50:65], v[180:181], v[164:165], v[50:65]
	;; [unrolled: 2-line block ×3, first 2 shown]
	v_mfma_f32_32x32x8f16 v[114:129], v[162:163], v[166:167], v[114:129]
	v_mfma_f32_32x32x8f16 v[98:113], v[162:163], v[174:175], v[98:113]
	v_add_u32_e32 v162, s19, v157
	v_mad_u64_u32 v[164:165], s[24:25], s2, v162, v[148:149]
	buffer_load_dwordx4 v[160:163], v160, s[12:15], 0 offen
	v_add_u32_e32 v148, 64, v148
	v_mfma_f32_32x32x8f16 v[66:81], v[178:179], v[166:167], v[66:81]
	v_mfma_f32_32x32x8f16 v[50:65], v[182:183], v[166:167], v[50:65]
	v_mfma_f32_32x32x8f16 v[2:17], v[186:187], v[166:167], v[2:17]
	buffer_load_dwordx4 v[164:167], v164, s[12:15], 0 offen
	s_waitcnt lgkmcnt(0)
	s_barrier
	s_waitcnt vmcnt(5)
	ds_write_b128 v151, v[130:133]
	s_waitcnt vmcnt(4)
	ds_write_b128 v151, v[134:137] offset:16
	s_waitcnt vmcnt(3)
	ds_write_b128 v151, v[138:141] offset:32
	;; [unrolled: 2-line block ×3, first 2 shown]
	s_waitcnt vmcnt(1)
	ds_write_b128 v152, v[160:163]
	s_waitcnt vmcnt(0)
	ds_write_b128 v152, v[164:167] offset:16
	v_mfma_f32_32x32x8f16 v[82:97], v[176:177], v[172:173], v[82:97]
	v_mfma_f32_32x32x8f16 v[34:49], v[180:181], v[172:173], v[34:49]
	;; [unrolled: 1-line block ×6, first 2 shown]
	s_cbranch_scc1 .LBB1_5
	s_branch .LBB1_7
.LBB1_6:
	v_mov_b32_e32 v33, s23
	v_mov_b32_e32 v32, s23
	;; [unrolled: 1-line block ×128, first 2 shown]
.LBB1_7:
	s_load_dword s2, s[10:11], 0x0
	s_load_dword s5, s[16:17], 0x0
	s_waitcnt lgkmcnt(0)
	s_barrier
	ds_read_b128 v[172:175], v171
	v_lshlrev_b32_e32 v138, 1, v146
	ds_read_b128 v[130:133], v138 offset:16400
	ds_read_b128 v[166:169], v171 offset:1024
	;; [unrolled: 1-line block ×6, first 2 shown]
	v_lshrrev_b32_e32 v180, 3, v0
	s_waitcnt lgkmcnt(5)
	v_mfma_f32_32x32x8f16 v[114:129], v[172:173], v[130:131], v[114:129]
	v_lshrrev_b32_e32 v0, 7, v0
	v_lshlrev_b32_e32 v182, 5, v0
	v_lshl_or_b32 v0, v0, 6, v170
	v_and_b32_e32 v181, 0x60, v150
	v_and_or_b32 v170, v180, 4, v182
	v_sub_u32_e32 v0, v1, v0
	v_add_u32_e32 v1, s0, v170
	v_add3_u32 v0, v0, v181, s22
	ds_read_b128 v[142:145], v138 offset:19488
	ds_read_b128 v[158:161], v171 offset:2048
	;; [unrolled: 1-line block ×5, first 2 shown]
	v_lshrrev_b32_e32 v171, 6, v0
	v_and_b32_e32 v180, 63, v0
	v_and_b32_e32 v0, 60, v1
	s_mul_i32 s21, s21, s1
	s_mul_hi_u32 s6, s20, s1
	v_mfma_f32_32x32x8f16 v[114:129], v[174:175], v[132:133], v[114:129]
	s_lshl_b32 s4, s2, 5
	v_lshrrev_b32_e32 v170, 6, v1
	v_and_or_b32 v0, s0, 3, v0
	s_lshl_b32 s2, s5, 5
	s_add_i32 s5, s6, s21
	v_mad_u64_u32 v[0:1], s[6:7], s4, v170, v[0:1]
	s_add_i32 s5, s5, s3
	v_mul_lo_u32 v171, s2, v171
	v_mul_lo_u32 v0, v0, s1
	s_lshl_b32 s3, s5, 1
	v_add3_u32 v0, v180, v171, v0
	s_mov_b32 s11, 0x20000
	s_add_i32 s10, s3, 2
	v_lshlrev_b32_e32 v1, 1, v0
	s_waitcnt lgkmcnt(6)
	v_mfma_f32_32x32x8f16 v[114:129], v[176:177], v[134:135], v[114:129]
	v_add_u32_e32 v170, s1, v0
	v_lshlrev_b32_e32 v171, 1, v170
	s_lshl_b32 s0, s1, 3
	v_add_u32_e32 v0, s0, v0
	s_mul_i32 s3, s4, s1
	v_mfma_f32_32x32x8f16 v[98:113], v[172:173], v[146:147], v[98:113]
	v_mfma_f32_32x32x8f16 v[114:129], v[178:179], v[136:137], v[114:129]
	;; [unrolled: 1-line block ×3, first 2 shown]
	s_nop 7
	s_nop 7
	;; [unrolled: 1-line block ×3, first 2 shown]
	v_cvt_f16_f32_e32 v114, v114
	v_cvt_f16_f32_e32 v115, v115
	buffer_store_short v114, v1, s[8:11], 0 offen
	buffer_store_short v115, v171, s[8:11], 0 offen
	v_cvt_f16_f32_e32 v1, v116
	v_add_u32_e32 v114, s1, v170
	v_cvt_f16_f32_e32 v116, v117
	v_lshlrev_b32_e32 v115, 1, v114
	buffer_store_short v1, v115, s[8:11], 0 offen
	v_add_u32_e32 v1, s1, v114
	v_lshlrev_b32_e32 v115, 1, v1
	buffer_store_short v116, v115, s[8:11], 0 offen
	v_cvt_f16_f32_e32 v115, v121
	v_add_u32_e32 v1, s0, v1
	s_waitcnt lgkmcnt(4)
	v_mfma_f32_32x32x8f16 v[98:113], v[176:177], v[142:143], v[98:113]
	v_lshlrev_b32_e32 v116, 1, v1
	buffer_store_short v115, v116, s[8:11], 0 offen
	v_cvt_f16_f32_e32 v115, v120
	v_add_u32_e32 v114, s0, v114
	v_cvt_f16_f32_e32 v117, v119
	v_lshlrev_b32_e32 v116, 1, v114
	buffer_store_short v115, v116, s[8:11], 0 offen
	v_add_u32_e32 v115, s0, v170
	v_lshlrev_b32_e32 v116, 1, v115
	buffer_store_short v117, v116, s[8:11], 0 offen
	v_cvt_f16_f32_e32 v116, v118
	v_cvt_f16_f32_e32 v117, v122
	v_lshlrev_b32_e32 v118, 1, v0
	v_add_lshl_u32 v0, v0, s0, 1
	buffer_store_short v116, v118, s[8:11], 0 offen
	v_mfma_f32_32x32x8f16 v[82:97], v[166:167], v[146:147], v[82:97]
	buffer_store_short v117, v0, s[8:11], 0 offen
	v_cvt_f16_f32_e32 v0, v123
	v_cvt_f16_f32_e32 v116, v124
	v_add_lshl_u32 v115, v115, s0, 1
	v_add_u32_e32 v1, s0, v1
	buffer_store_short v0, v115, s[8:11], 0 offen
	v_add_lshl_u32 v0, v114, s0, 1
	buffer_store_short v116, v0, s[8:11], 0 offen
	v_cvt_f16_f32_e32 v0, v125
	v_cvt_f16_f32_e32 v115, v129
	v_lshlrev_b32_e32 v114, 1, v1
	v_cvt_f16_f32_e32 v117, v127
	buffer_store_short v0, v114, s[8:11], 0 offen
	v_add_u32_e32 v0, s0, v1
	v_lshlrev_b32_e32 v114, 1, v0
	v_mfma_f32_32x32x8f16 v[98:113], v[178:179], v[144:145], v[98:113]
	buffer_store_short v115, v114, s[8:11], 0 offen
	v_cvt_f16_f32_e32 v115, v128
	v_subrev_u32_e32 v114, s1, v0
	v_lshlrev_b32_e32 v116, 1, v114
	v_add_u32_e32 v0, s2, v0
	buffer_store_short v115, v116, s[8:11], 0 offen
	v_subrev_u32_e32 v115, s1, v114
	v_lshlrev_b32_e32 v116, 1, v115
	buffer_store_short v117, v116, s[8:11], 0 offen
	v_cvt_f16_f32_e32 v116, v126
	v_subrev_u32_e32 v117, s1, v115
	v_lshlrev_b32_e32 v118, 1, v117
	v_add_u32_e32 v1, s2, v1
	buffer_store_short v116, v118, s[8:11], 0 offen
	v_add_lshl_u32 v116, v117, s2, 1
	v_mfma_f32_32x32x8f16 v[82:97], v[168:169], v[148:149], v[82:97]
	s_nop 2
	v_cvt_f16_f32_e32 v110, v110
	v_cvt_f16_f32_e32 v112, v112
	;; [unrolled: 1-line block ×4, first 2 shown]
	buffer_store_short v110, v116, s[8:11], 0 offen
	v_cvt_f16_f32_e32 v110, v111
	v_add_lshl_u32 v111, v115, s2, 1
	v_cvt_f16_f32_e32 v107, v107
	v_cvt_f16_f32_e32 v106, v106
	buffer_store_short v110, v111, s[8:11], 0 offen
	v_add_lshl_u32 v110, v114, s2, 1
	buffer_store_short v112, v110, s[8:11], 0 offen
	v_cvt_f16_f32_e32 v110, v113
	v_lshlrev_b32_e32 v111, 1, v0
	v_cvt_f16_f32_e32 v102, v102
	v_mfma_f32_32x32x8f16 v[82:97], v[162:163], v[142:143], v[82:97]
	buffer_store_short v110, v111, s[8:11], 0 offen
	v_lshlrev_b32_e32 v110, 1, v1
	buffer_store_short v109, v110, s[8:11], 0 offen
	v_subrev_u32_e32 v109, s1, v1
	v_lshlrev_b32_e32 v110, 1, v109
	buffer_store_short v108, v110, s[8:11], 0 offen
	v_subrev_u32_e32 v108, s1, v109
	;; [unrolled: 3-line block ×4, first 2 shown]
	v_cvt_f16_f32_e32 v103, v103
	v_lshlrev_b32_e32 v107, 1, v106
	v_mfma_f32_32x32x8f16 v[66:81], v[166:167], v[130:131], v[66:81]
	buffer_store_short v102, v107, s[8:11], 0 offen
	v_add_u32_e32 v102, s1, v106
	v_cvt_f16_f32_e32 v104, v104
	v_lshlrev_b32_e32 v107, 1, v102
	buffer_store_short v103, v107, s[8:11], 0 offen
	v_add_u32_e32 v103, s1, v102
	v_lshlrev_b32_e32 v107, 1, v103
	buffer_store_short v104, v107, s[8:11], 0 offen
	v_cvt_f16_f32_e32 v104, v105
	v_add_u32_e32 v105, s1, v103
	v_cvt_f16_f32_e32 v101, v101
	v_lshlrev_b32_e32 v107, 1, v105
	buffer_store_short v104, v107, s[8:11], 0 offen
	v_subrev_u32_e32 v104, s0, v105
	v_cvt_f16_f32_e32 v100, v100
	v_mfma_f32_32x32x8f16 v[82:97], v[164:165], v[144:145], v[82:97]
	v_lshlrev_b32_e32 v107, 1, v104
	buffer_store_short v101, v107, s[8:11], 0 offen
	v_subrev_u32_e32 v101, s1, v104
	v_cvt_f16_f32_e32 v99, v99
	v_lshlrev_b32_e32 v107, 1, v101
	buffer_store_short v100, v107, s[8:11], 0 offen
	v_subrev_u32_e32 v100, s1, v101
	v_cvt_f16_f32_e32 v98, v98
	v_lshlrev_b32_e32 v107, 1, v100
	buffer_store_short v99, v107, s[8:11], 0 offen
	v_subrev_u32_e32 v99, s1, v100
	v_lshlrev_b32_e32 v107, 1, v99
	buffer_store_short v98, v107, s[8:11], 0 offen
	v_add_lshl_u32 v98, v99, s3, 1
	v_add_lshl_u32 v1, v1, s3, 1
	v_mfma_f32_32x32x8f16 v[66:81], v[168:169], v[132:133], v[66:81]
	s_nop 2
	v_cvt_f16_f32_e32 v82, v82
	v_cvt_f16_f32_e32 v84, v84
	v_add_u32_e32 v0, s3, v0
	buffer_store_short v82, v98, s[8:11], 0 offen
	v_cvt_f16_f32_e32 v82, v83
	v_add_lshl_u32 v83, v100, s3, 1
	buffer_store_short v82, v83, s[8:11], 0 offen
	v_add_lshl_u32 v82, v101, s3, 1
	v_cvt_f16_f32_e32 v83, v85
	buffer_store_short v84, v82, s[8:11], 0 offen
	v_cvt_f16_f32_e32 v82, v89
	v_add_lshl_u32 v84, v104, s3, 1
	v_mfma_f32_32x32x8f16 v[66:81], v[162:163], v[134:135], v[66:81]
	buffer_store_short v83, v84, s[8:11], 0 offen
	v_add_lshl_u32 v83, v105, s3, 1
	buffer_store_short v82, v83, s[8:11], 0 offen
	v_cvt_f16_f32_e32 v83, v88
	v_add_u32_e32 v82, s3, v103
	v_cvt_f16_f32_e32 v85, v87
	v_lshlrev_b32_e32 v84, 1, v82
	buffer_store_short v83, v84, s[8:11], 0 offen
	v_add_u32_e32 v83, s3, v102
	v_lshlrev_b32_e32 v84, 1, v83
	buffer_store_short v85, v84, s[8:11], 0 offen
	v_cvt_f16_f32_e32 v84, v86
	v_add_u32_e32 v85, s3, v106
	v_lshlrev_b32_e32 v86, 1, v85
	v_cvt_f16_f32_e32 v87, v90
	s_waitcnt lgkmcnt(3)
	v_mfma_f32_32x32x8f16 v[50:65], v[158:159], v[130:131], v[50:65]
	buffer_store_short v84, v86, s[8:11], 0 offen
	v_cvt_f16_f32_e32 v84, v91
	v_add_lshl_u32 v85, v85, s0, 1
	v_add_lshl_u32 v83, v83, s0, 1
	buffer_store_short v87, v85, s[8:11], 0 offen
	buffer_store_short v84, v83, s[8:11], 0 offen
	v_cvt_f16_f32_e32 v83, v92
	v_cvt_f16_f32_e32 v84, v93
	v_add_lshl_u32 v82, v82, s0, 1
	buffer_store_short v83, v82, s[8:11], 0 offen
	buffer_store_short v84, v1, s[8:11], 0 offen
	v_cvt_f16_f32_e32 v1, v97
	v_cvt_f16_f32_e32 v83, v96
	v_lshlrev_b32_e32 v82, 1, v0
	v_mfma_f32_32x32x8f16 v[66:81], v[164:165], v[136:137], v[66:81]
	buffer_store_short v1, v82, s[8:11], 0 offen
	v_subrev_u32_e32 v1, s1, v0
	v_lshlrev_b32_e32 v82, 1, v1
	buffer_store_short v83, v82, s[8:11], 0 offen
	v_cvt_f16_f32_e32 v82, v95
	v_cvt_f16_f32_e32 v84, v94
	v_subrev_u32_e32 v1, s1, v1
	v_lshlrev_b32_e32 v83, 1, v1
	v_subrev_u32_e32 v1, s1, v1
	buffer_store_short v82, v83, s[8:11], 0 offen
	v_lshlrev_b32_e32 v82, 1, v1
	v_subrev_u32_e32 v1, s2, v1
	buffer_store_short v84, v82, s[8:11], 0 offen
	v_lshlrev_b32_e32 v82, 1, v1
	v_add_u32_e32 v0, s3, v0
	v_mfma_f32_32x32x8f16 v[50:65], v[160:161], v[132:133], v[50:65]
	s_nop 2
	v_cvt_f16_f32_e32 v78, v78
	v_cvt_f16_f32_e32 v79, v79
	;; [unrolled: 1-line block ×4, first 2 shown]
	buffer_store_short v78, v82, s[8:11], 0 offen
	v_add_u32_e32 v78, s1, v1
	v_lshlrev_b32_e32 v82, 1, v78
	buffer_store_short v79, v82, s[8:11], 0 offen
	v_cvt_f16_f32_e32 v79, v80
	v_add_u32_e32 v80, s1, v78
	v_lshlrev_b32_e32 v82, 1, v80
	v_cvt_f16_f32_e32 v75, v75
	buffer_store_short v79, v82, s[8:11], 0 offen
	v_cvt_f16_f32_e32 v79, v81
	v_add_u32_e32 v81, s1, v80
	s_waitcnt lgkmcnt(1)
	v_mfma_f32_32x32x8f16 v[50:65], v[154:155], v[134:135], v[50:65]
	v_lshlrev_b32_e32 v82, 1, v81
	buffer_store_short v79, v82, s[8:11], 0 offen
	v_subrev_u32_e32 v79, s0, v81
	v_lshlrev_b32_e32 v82, 1, v79
	buffer_store_short v77, v82, s[8:11], 0 offen
	v_subrev_u32_e32 v77, s1, v79
	v_lshlrev_b32_e32 v82, 1, v77
	buffer_store_short v76, v82, s[8:11], 0 offen
	v_subrev_u32_e32 v76, s1, v77
	v_cvt_f16_f32_e32 v74, v74
	v_lshlrev_b32_e32 v77, 1, v76
	buffer_store_short v75, v77, s[8:11], 0 offen
	v_subrev_u32_e32 v75, s1, v76
	v_cvt_f16_f32_e32 v70, v70
	v_lshlrev_b32_e32 v76, 1, v75
	v_mfma_f32_32x32x8f16 v[34:49], v[158:159], v[146:147], v[34:49]
	buffer_store_short v74, v76, s[8:11], 0 offen
	v_subrev_u32_e32 v74, s0, v75
	v_cvt_f16_f32_e32 v71, v71
	v_lshlrev_b32_e32 v75, 1, v74
	buffer_store_short v70, v75, s[8:11], 0 offen
	v_add_u32_e32 v70, s1, v74
	v_cvt_f16_f32_e32 v72, v72
	v_lshlrev_b32_e32 v75, 1, v70
	buffer_store_short v71, v75, s[8:11], 0 offen
	v_add_u32_e32 v71, s1, v70
	v_lshlrev_b32_e32 v75, 1, v71
	buffer_store_short v72, v75, s[8:11], 0 offen
	v_cvt_f16_f32_e32 v72, v73
	v_add_u32_e32 v73, s1, v71
	v_cvt_f16_f32_e32 v69, v69
	v_mfma_f32_32x32x8f16 v[50:65], v[156:157], v[136:137], v[50:65]
	v_lshlrev_b32_e32 v75, 1, v73
	buffer_store_short v72, v75, s[8:11], 0 offen
	v_subrev_u32_e32 v72, s0, v73
	v_cvt_f16_f32_e32 v68, v68
	v_lshlrev_b32_e32 v75, 1, v72
	buffer_store_short v69, v75, s[8:11], 0 offen
	v_subrev_u32_e32 v69, s1, v72
	v_cvt_f16_f32_e32 v67, v67
	;; [unrolled: 4-line block ×3, first 2 shown]
	v_lshlrev_b32_e32 v75, 1, v68
	buffer_store_short v67, v75, s[8:11], 0 offen
	v_subrev_u32_e32 v67, s1, v68
	v_mfma_f32_32x32x8f16 v[34:49], v[160:161], v[148:149], v[34:49]
	s_nop 2
	v_cvt_f16_f32_e32 v50, v50
	v_lshlrev_b32_e32 v75, 1, v67
	buffer_store_short v66, v75, s[8:11], 0 offen
	v_add_lshl_u32 v66, v67, s3, 1
	buffer_store_short v50, v66, s[8:11], 0 offen
	v_cvt_f16_f32_e32 v50, v51
	v_cvt_f16_f32_e32 v52, v52
	v_add_lshl_u32 v51, v68, s3, 1
	v_add_u32_e32 v1, s3, v1
	buffer_store_short v50, v51, s[8:11], 0 offen
	v_cvt_f16_f32_e32 v51, v53
	v_add_lshl_u32 v50, v69, s3, 1
	buffer_store_short v52, v50, s[8:11], 0 offen
	v_cvt_f16_f32_e32 v52, v57
	v_add_lshl_u32 v50, v72, s3, 1
	v_mfma_f32_32x32x8f16 v[34:49], v[154:155], v[142:143], v[34:49]
	buffer_store_short v51, v50, s[8:11], 0 offen
	v_cvt_f16_f32_e32 v51, v56
	v_add_lshl_u32 v50, v73, s3, 1
	buffer_store_short v52, v50, s[8:11], 0 offen
	v_add_u32_e32 v50, s3, v71
	v_lshlrev_b32_e32 v52, 1, v50
	buffer_store_short v51, v52, s[8:11], 0 offen
	v_cvt_f16_f32_e32 v51, v55
	v_add_u32_e32 v52, s3, v70
	v_lshlrev_b32_e32 v53, 1, v52
	v_cvt_f16_f32_e32 v55, v58
	buffer_store_short v51, v53, s[8:11], 0 offen
	v_cvt_f16_f32_e32 v51, v54
	v_add_u32_e32 v53, s3, v74
	v_lshlrev_b32_e32 v54, 1, v53
	v_mfma_f32_32x32x8f16 v[18:33], v[150:151], v[146:147], v[18:33]
	buffer_store_short v51, v54, s[8:11], 0 offen
	v_cvt_f16_f32_e32 v51, v59
	v_add_lshl_u32 v53, v53, s0, 1
	v_add_lshl_u32 v52, v52, s0, 1
	buffer_store_short v55, v53, s[8:11], 0 offen
	buffer_store_short v51, v52, s[8:11], 0 offen
	v_cvt_f16_f32_e32 v51, v60
	v_add_lshl_u32 v50, v50, s0, 1
	v_cvt_f16_f32_e32 v52, v61
	v_cvt_f16_f32_e32 v53, v63
	buffer_store_short v51, v50, s[8:11], 0 offen
	v_cvt_f16_f32_e32 v50, v65
	v_add_lshl_u32 v51, v79, s3, 1
	buffer_store_short v52, v51, s[8:11], 0 offen
	v_add_lshl_u32 v51, v81, s3, 1
	v_mfma_f32_32x32x8f16 v[34:49], v[156:157], v[144:145], v[34:49]
	buffer_store_short v50, v51, s[8:11], 0 offen
	v_cvt_f16_f32_e32 v50, v64
	v_add_u32_e32 v51, s3, v80
	v_lshlrev_b32_e32 v52, 1, v51
	buffer_store_short v50, v52, s[8:11], 0 offen
	v_add_u32_e32 v50, s3, v78
	v_lshlrev_b32_e32 v52, 1, v50
	buffer_store_short v53, v52, s[8:11], 0 offen
	v_cvt_f16_f32_e32 v52, v62
	v_lshlrev_b32_e32 v53, 1, v1
	v_add_lshl_u32 v1, v1, s2, 1
	buffer_store_short v52, v53, s[8:11], 0 offen
	s_nop 6
	v_cvt_f16_f32_e32 v46, v46
	v_mfma_f32_32x32x8f16 v[18:33], v[152:153], v[148:149], v[18:33]
	v_cvt_f16_f32_e32 v47, v47
	v_cvt_f16_f32_e32 v45, v45
	buffer_store_short v46, v1, s[8:11], 0 offen
	v_cvt_f16_f32_e32 v1, v48
	v_add_lshl_u32 v46, v50, s2, 1
	buffer_store_short v47, v46, s[8:11], 0 offen
	v_add_lshl_u32 v46, v51, s2, 1
	buffer_store_short v1, v46, s[8:11], 0 offen
	v_cvt_f16_f32_e32 v1, v49
	v_lshlrev_b32_e32 v46, 1, v0
	v_cvt_f16_f32_e32 v44, v44
	v_cvt_f16_f32_e32 v43, v43
	buffer_store_short v1, v46, s[8:11], 0 offen
	v_subrev_u32_e32 v1, s0, v0
	v_lshlrev_b32_e32 v46, 1, v1
	s_waitcnt lgkmcnt(0)
	v_mfma_f32_32x32x8f16 v[18:33], v[138:139], v[142:143], v[18:33]
	buffer_store_short v45, v46, s[8:11], 0 offen
	v_subrev_u32_e32 v45, s1, v1
	v_lshlrev_b32_e32 v46, 1, v45
	buffer_store_short v44, v46, s[8:11], 0 offen
	v_subrev_u32_e32 v44, s1, v45
	v_cvt_f16_f32_e32 v42, v42
	v_lshlrev_b32_e32 v45, 1, v44
	buffer_store_short v43, v45, s[8:11], 0 offen
	v_subrev_u32_e32 v43, s1, v44
	v_cvt_f16_f32_e32 v38, v38
	;; [unrolled: 4-line block ×3, first 2 shown]
	v_lshlrev_b32_e32 v43, 1, v42
	v_mfma_f32_32x32x8f16 v[2:17], v[150:151], v[130:131], v[2:17]
	buffer_store_short v38, v43, s[8:11], 0 offen
	v_add_u32_e32 v38, s1, v42
	v_cvt_f16_f32_e32 v40, v40
	v_lshlrev_b32_e32 v43, 1, v38
	buffer_store_short v39, v43, s[8:11], 0 offen
	v_add_u32_e32 v39, s1, v38
	v_cvt_f16_f32_e32 v41, v41
	v_lshlrev_b32_e32 v43, 1, v39
	;; [unrolled: 4-line block ×3, first 2 shown]
	buffer_store_short v41, v43, s[8:11], 0 offen
	v_subrev_u32_e32 v41, s0, v40
	v_cvt_f16_f32_e32 v36, v36
	v_mfma_f32_32x32x8f16 v[18:33], v[140:141], v[144:145], v[18:33]
	v_lshlrev_b32_e32 v43, 1, v41
	buffer_store_short v37, v43, s[8:11], 0 offen
	v_subrev_u32_e32 v37, s1, v41
	v_cvt_f16_f32_e32 v35, v35
	v_lshlrev_b32_e32 v43, 1, v37
	buffer_store_short v36, v43, s[8:11], 0 offen
	v_subrev_u32_e32 v36, s1, v37
	v_cvt_f16_f32_e32 v34, v34
	v_lshlrev_b32_e32 v43, 1, v36
	buffer_store_short v35, v43, s[8:11], 0 offen
	v_subrev_u32_e32 v35, s1, v36
	v_lshlrev_b32_e32 v43, 1, v35
	buffer_store_short v34, v43, s[8:11], 0 offen
	v_add_lshl_u32 v34, v35, s3, 1
	v_add_lshl_u32 v1, v1, s3, 1
	v_mfma_f32_32x32x8f16 v[2:17], v[152:153], v[132:133], v[2:17]
	s_nop 2
	v_cvt_f16_f32_e32 v18, v18
	v_cvt_f16_f32_e32 v19, v19
	v_add_u32_e32 v0, s3, v0
	buffer_store_short v18, v34, s[8:11], 0 offen
	v_cvt_f16_f32_e32 v18, v20
	v_add_lshl_u32 v20, v36, s3, 1
	buffer_store_short v19, v20, s[8:11], 0 offen
	v_add_lshl_u32 v19, v37, s3, 1
	buffer_store_short v18, v19, s[8:11], 0 offen
	v_cvt_f16_f32_e32 v18, v21
	v_cvt_f16_f32_e32 v19, v25
	v_add_lshl_u32 v20, v41, s3, 1
	v_cvt_f16_f32_e32 v21, v23
	buffer_store_short v18, v20, s[8:11], 0 offen
	v_mfma_f32_32x32x8f16 v[2:17], v[138:139], v[134:135], v[2:17]
	v_add_lshl_u32 v18, v40, s3, 1
	buffer_store_short v19, v18, s[8:11], 0 offen
	v_cvt_f16_f32_e32 v18, v24
	v_add_u32_e32 v19, s3, v39
	v_lshlrev_b32_e32 v20, 1, v19
	v_cvt_f16_f32_e32 v23, v26
	buffer_store_short v18, v20, s[8:11], 0 offen
	v_add_u32_e32 v18, s3, v38
	v_lshlrev_b32_e32 v20, 1, v18
	buffer_store_short v21, v20, s[8:11], 0 offen
	v_cvt_f16_f32_e32 v21, v22
	v_add_u32_e32 v20, s3, v42
	v_lshlrev_b32_e32 v22, 1, v20
	v_add_lshl_u32 v20, v20, s0, 1
	buffer_store_short v21, v22, s[8:11], 0 offen
	v_cvt_f16_f32_e32 v21, v27
	v_mfma_f32_32x32x8f16 v[2:17], v[140:141], v[136:137], v[2:17]
	v_add_lshl_u32 v18, v18, s0, 1
	buffer_store_short v23, v20, s[8:11], 0 offen
	v_cvt_f16_f32_e32 v20, v28
	buffer_store_short v21, v18, s[8:11], 0 offen
	v_cvt_f16_f32_e32 v18, v29
	v_add_lshl_u32 v19, v19, s0, 1
	buffer_store_short v20, v19, s[8:11], 0 offen
	v_cvt_f16_f32_e32 v19, v32
	buffer_store_short v18, v1, s[8:11], 0 offen
	v_cvt_f16_f32_e32 v1, v33
	v_lshlrev_b32_e32 v18, 1, v0
	v_subrev_u32_e32 v0, s1, v0
	buffer_store_short v1, v18, s[8:11], 0 offen
	v_lshlrev_b32_e32 v1, 1, v0
	buffer_store_short v19, v1, s[8:11], 0 offen
	v_cvt_f16_f32_e32 v1, v31
	v_cvt_f16_f32_e32 v19, v30
	v_subrev_u32_e32 v0, s1, v0
	v_lshlrev_b32_e32 v18, 1, v0
	v_subrev_u32_e32 v0, s1, v0
	buffer_store_short v1, v18, s[8:11], 0 offen
	v_lshlrev_b32_e32 v1, 1, v0
	buffer_store_short v19, v1, s[8:11], 0 offen
	v_cvt_f16_f32_e32 v1, v14
	v_cvt_f16_f32_e32 v15, v15
	v_subrev_u32_e32 v0, s2, v0
	v_lshlrev_b32_e32 v14, 1, v0
	v_add_u32_e32 v0, s1, v0
	buffer_store_short v1, v14, s[8:11], 0 offen
	v_lshlrev_b32_e32 v1, 1, v0
	buffer_store_short v15, v1, s[8:11], 0 offen
	v_cvt_f16_f32_e32 v1, v16
	v_cvt_f16_f32_e32 v15, v17
	v_add_u32_e32 v0, s1, v0
	v_lshlrev_b32_e32 v14, 1, v0
	v_add_u32_e32 v0, s1, v0
	buffer_store_short v1, v14, s[8:11], 0 offen
	v_lshlrev_b32_e32 v1, 1, v0
	buffer_store_short v15, v1, s[8:11], 0 offen
	v_cvt_f16_f32_e32 v1, v13
	v_cvt_f16_f32_e32 v12, v12
	v_subrev_u32_e32 v0, s0, v0
	v_lshlrev_b32_e32 v13, 1, v0
	v_subrev_u32_e32 v0, s1, v0
	buffer_store_short v1, v13, s[8:11], 0 offen
	v_lshlrev_b32_e32 v1, 1, v0
	buffer_store_short v12, v1, s[8:11], 0 offen
	v_cvt_f16_f32_e32 v1, v11
	v_cvt_f16_f32_e32 v10, v10
	v_subrev_u32_e32 v0, s1, v0
	v_lshlrev_b32_e32 v11, 1, v0
	v_subrev_u32_e32 v0, s1, v0
	buffer_store_short v1, v11, s[8:11], 0 offen
	v_lshlrev_b32_e32 v1, 1, v0
	buffer_store_short v10, v1, s[8:11], 0 offen
	v_cvt_f16_f32_e32 v1, v6
	v_cvt_f16_f32_e32 v7, v7
	v_subrev_u32_e32 v0, s0, v0
	v_lshlrev_b32_e32 v6, 1, v0
	v_add_u32_e32 v0, s1, v0
	buffer_store_short v1, v6, s[8:11], 0 offen
	v_lshlrev_b32_e32 v1, 1, v0
	buffer_store_short v7, v1, s[8:11], 0 offen
	v_cvt_f16_f32_e32 v1, v8
	v_cvt_f16_f32_e32 v7, v9
	v_add_u32_e32 v0, s1, v0
	v_lshlrev_b32_e32 v6, 1, v0
	v_add_u32_e32 v0, s1, v0
	buffer_store_short v1, v6, s[8:11], 0 offen
	v_lshlrev_b32_e32 v1, 1, v0
	buffer_store_short v7, v1, s[8:11], 0 offen
	v_cvt_f16_f32_e32 v1, v5
	v_cvt_f16_f32_e32 v4, v4
	v_subrev_u32_e32 v0, s0, v0
	v_lshlrev_b32_e32 v5, 1, v0
	v_subrev_u32_e32 v0, s1, v0
	buffer_store_short v1, v5, s[8:11], 0 offen
	v_lshlrev_b32_e32 v1, 1, v0
	buffer_store_short v4, v1, s[8:11], 0 offen
	v_cvt_f16_f32_e32 v1, v3
	v_cvt_f16_f32_e32 v2, v2
	v_subrev_u32_e32 v0, s1, v0
	v_lshlrev_b32_e32 v3, 1, v0
	v_subrev_u32_e32 v0, s1, v0
	v_lshlrev_b32_e32 v0, 1, v0
	buffer_store_short v1, v3, s[8:11], 0 offen
	buffer_store_short v2, v0, s[8:11], 0 offen
	s_endpgm
	.section	.rodata,"a",@progbits
	.p2align	6, 0x0
	.amdhsa_kernel _Z10DeviceGemmIDF16_N2ck7wrapper48BlockwisGemmXdlTraits_32x32Xdl_4x2XdlPerWave_8K1ELi8ENS0_5TupleIJNS0_17integral_constantIiLi256EEENS4_IiLi128EEENS4_IiLi32EEEEEENS1_6LayoutINS3_IJNS4_IiLi4EEENS4_IiLi64EEENS4_IiLi1EEEEEENS0_16TensorDescriptorINS3_IJNS0_5EmbedISD_NS3_IJSC_SA_SC_EEELb0EEEEEENS3_IJNS0_8SequenceIJLi0EEEEEEENS3_IJNSJ_IJLi1ELi2ELi3EEEEEEESM_NS4_IlLl256EEEEEEELb0EEvPKvSS_PviiiT2_T3_
		.amdhsa_group_segment_fixed_size 24600
		.amdhsa_private_segment_fixed_size 0
		.amdhsa_kernarg_size 76
		.amdhsa_user_sgpr_count 6
		.amdhsa_user_sgpr_private_segment_buffer 1
		.amdhsa_user_sgpr_dispatch_ptr 0
		.amdhsa_user_sgpr_queue_ptr 0
		.amdhsa_user_sgpr_kernarg_segment_ptr 1
		.amdhsa_user_sgpr_dispatch_id 0
		.amdhsa_user_sgpr_flat_scratch_init 0
		.amdhsa_user_sgpr_kernarg_preload_length 0
		.amdhsa_user_sgpr_kernarg_preload_offset 0
		.amdhsa_user_sgpr_private_segment_size 0
		.amdhsa_uses_dynamic_stack 0
		.amdhsa_system_sgpr_private_segment_wavefront_offset 0
		.amdhsa_system_sgpr_workgroup_id_x 1
		.amdhsa_system_sgpr_workgroup_id_y 1
		.amdhsa_system_sgpr_workgroup_id_z 0
		.amdhsa_system_sgpr_workgroup_info 0
		.amdhsa_system_vgpr_workitem_id 0
		.amdhsa_next_free_vgpr 188
		.amdhsa_next_free_sgpr 26
		.amdhsa_accum_offset 188
		.amdhsa_reserve_vcc 1
		.amdhsa_reserve_flat_scratch 0
		.amdhsa_float_round_mode_32 0
		.amdhsa_float_round_mode_16_64 0
		.amdhsa_float_denorm_mode_32 3
		.amdhsa_float_denorm_mode_16_64 3
		.amdhsa_dx10_clamp 1
		.amdhsa_ieee_mode 1
		.amdhsa_fp16_overflow 0
		.amdhsa_tg_split 0
		.amdhsa_exception_fp_ieee_invalid_op 0
		.amdhsa_exception_fp_denorm_src 0
		.amdhsa_exception_fp_ieee_div_zero 0
		.amdhsa_exception_fp_ieee_overflow 0
		.amdhsa_exception_fp_ieee_underflow 0
		.amdhsa_exception_fp_ieee_inexact 0
		.amdhsa_exception_int_div_zero 0
	.end_amdhsa_kernel
	.section	.text._Z10DeviceGemmIDF16_N2ck7wrapper48BlockwisGemmXdlTraits_32x32Xdl_4x2XdlPerWave_8K1ELi8ENS0_5TupleIJNS0_17integral_constantIiLi256EEENS4_IiLi128EEENS4_IiLi32EEEEEENS1_6LayoutINS3_IJNS4_IiLi4EEENS4_IiLi64EEENS4_IiLi1EEEEEENS0_16TensorDescriptorINS3_IJNS0_5EmbedISD_NS3_IJSC_SA_SC_EEELb0EEEEEENS3_IJNS0_8SequenceIJLi0EEEEEEENS3_IJNSJ_IJLi1ELi2ELi3EEEEEEESM_NS4_IlLl256EEEEEEELb0EEvPKvSS_PviiiT2_T3_,"axG",@progbits,_Z10DeviceGemmIDF16_N2ck7wrapper48BlockwisGemmXdlTraits_32x32Xdl_4x2XdlPerWave_8K1ELi8ENS0_5TupleIJNS0_17integral_constantIiLi256EEENS4_IiLi128EEENS4_IiLi32EEEEEENS1_6LayoutINS3_IJNS4_IiLi4EEENS4_IiLi64EEENS4_IiLi1EEEEEENS0_16TensorDescriptorINS3_IJNS0_5EmbedISD_NS3_IJSC_SA_SC_EEELb0EEEEEENS3_IJNS0_8SequenceIJLi0EEEEEEENS3_IJNSJ_IJLi1ELi2ELi3EEEEEEESM_NS4_IlLl256EEEEEEELb0EEvPKvSS_PviiiT2_T3_,comdat
.Lfunc_end1:
	.size	_Z10DeviceGemmIDF16_N2ck7wrapper48BlockwisGemmXdlTraits_32x32Xdl_4x2XdlPerWave_8K1ELi8ENS0_5TupleIJNS0_17integral_constantIiLi256EEENS4_IiLi128EEENS4_IiLi32EEEEEENS1_6LayoutINS3_IJNS4_IiLi4EEENS4_IiLi64EEENS4_IiLi1EEEEEENS0_16TensorDescriptorINS3_IJNS0_5EmbedISD_NS3_IJSC_SA_SC_EEELb0EEEEEENS3_IJNS0_8SequenceIJLi0EEEEEEENS3_IJNSJ_IJLi1ELi2ELi3EEEEEEESM_NS4_IlLl256EEEEEEELb0EEvPKvSS_PviiiT2_T3_, .Lfunc_end1-_Z10DeviceGemmIDF16_N2ck7wrapper48BlockwisGemmXdlTraits_32x32Xdl_4x2XdlPerWave_8K1ELi8ENS0_5TupleIJNS0_17integral_constantIiLi256EEENS4_IiLi128EEENS4_IiLi32EEEEEENS1_6LayoutINS3_IJNS4_IiLi4EEENS4_IiLi64EEENS4_IiLi1EEEEEENS0_16TensorDescriptorINS3_IJNS0_5EmbedISD_NS3_IJSC_SA_SC_EEELb0EEEEEENS3_IJNS0_8SequenceIJLi0EEEEEEENS3_IJNSJ_IJLi1ELi2ELi3EEEEEEESM_NS4_IlLl256EEEEEEELb0EEvPKvSS_PviiiT2_T3_
                                        ; -- End function
	.section	.AMDGPU.csdata,"",@progbits
; Kernel info:
; codeLenInByte = 5856
; NumSgprs: 30
; NumVgprs: 188
; NumAgprs: 0
; TotalNumVgprs: 188
; ScratchSize: 0
; MemoryBound: 0
; FloatMode: 240
; IeeeMode: 1
; LDSByteSize: 24600 bytes/workgroup (compile time only)
; SGPRBlocks: 3
; VGPRBlocks: 23
; NumSGPRsForWavesPerEU: 30
; NumVGPRsForWavesPerEU: 188
; AccumOffset: 188
; Occupancy: 2
; WaveLimiterHint : 0
; COMPUTE_PGM_RSRC2:SCRATCH_EN: 0
; COMPUTE_PGM_RSRC2:USER_SGPR: 6
; COMPUTE_PGM_RSRC2:TRAP_HANDLER: 0
; COMPUTE_PGM_RSRC2:TGID_X_EN: 1
; COMPUTE_PGM_RSRC2:TGID_Y_EN: 1
; COMPUTE_PGM_RSRC2:TGID_Z_EN: 0
; COMPUTE_PGM_RSRC2:TIDIG_COMP_CNT: 0
; COMPUTE_PGM_RSRC3_GFX90A:ACCUM_OFFSET: 46
; COMPUTE_PGM_RSRC3_GFX90A:TG_SPLIT: 0
	.text
	.p2alignl 6, 3212836864
	.fill 256, 4, 3212836864
	.protected	_ZN2ck51BlockwiseGemmXdlops_k0mk1_k0nk1_m0n0m1n1m2m3m4n2_v1ILi256EDF16_DF16_fNS_16TensorDescriptorINS_5TupleIJNS_5EmbedINS2_IJNS_17integral_constantIiLi4EEENS4_IiLi256EEENS4_IiLi8EEEEEENS2_IJNS4_IiLi2056EEES7_NS4_IiLi1EEEEEELb0EEEEEENS2_IJNS_8SequenceIJLi0EEEEEEENS2_IJNSE_IJLi1ELi2ELi3EEEEEEESH_NS4_IlLl8216EEEEENS1_INS2_IJNS3_INS2_IJS5_NS4_IiLi128EEES7_EEENS2_IJNS4_IiLi1032EEES7_SA_EEELb0EEEEEESG_SI_SH_NS4_IlLl4120EEEEELi32ELi32ELi4ELi2ELi8EDF16_DF16_E6MWavesE ; @_ZN2ck51BlockwiseGemmXdlops_k0mk1_k0nk1_m0n0m1n1m2m3m4n2_v1ILi256EDF16_DF16_fNS_16TensorDescriptorINS_5TupleIJNS_5EmbedINS2_IJNS_17integral_constantIiLi4EEENS4_IiLi256EEENS4_IiLi8EEEEEENS2_IJNS4_IiLi2056EEES7_NS4_IiLi1EEEEEELb0EEEEEENS2_IJNS_8SequenceIJLi0EEEEEEENS2_IJNSE_IJLi1ELi2ELi3EEEEEEESH_NS4_IlLl8216EEEEENS1_INS2_IJNS3_INS2_IJS5_NS4_IiLi128EEES7_EEENS2_IJNS4_IiLi1032EEES7_SA_EEELb0EEEEEESG_SI_SH_NS4_IlLl4120EEEEELi32ELi32ELi4ELi2ELi8EDF16_DF16_E6MWavesE
	.type	_ZN2ck51BlockwiseGemmXdlops_k0mk1_k0nk1_m0n0m1n1m2m3m4n2_v1ILi256EDF16_DF16_fNS_16TensorDescriptorINS_5TupleIJNS_5EmbedINS2_IJNS_17integral_constantIiLi4EEENS4_IiLi256EEENS4_IiLi8EEEEEENS2_IJNS4_IiLi2056EEES7_NS4_IiLi1EEEEEELb0EEEEEENS2_IJNS_8SequenceIJLi0EEEEEEENS2_IJNSE_IJLi1ELi2ELi3EEEEEEESH_NS4_IlLl8216EEEEENS1_INS2_IJNS3_INS2_IJS5_NS4_IiLi128EEES7_EEENS2_IJNS4_IiLi1032EEES7_SA_EEELb0EEEEEESG_SI_SH_NS4_IlLl4120EEEEELi32ELi32ELi4ELi2ELi8EDF16_DF16_E6MWavesE,@object
	.section	.rodata._ZN2ck51BlockwiseGemmXdlops_k0mk1_k0nk1_m0n0m1n1m2m3m4n2_v1ILi256EDF16_DF16_fNS_16TensorDescriptorINS_5TupleIJNS_5EmbedINS2_IJNS_17integral_constantIiLi4EEENS4_IiLi256EEENS4_IiLi8EEEEEENS2_IJNS4_IiLi2056EEES7_NS4_IiLi1EEEEEELb0EEEEEENS2_IJNS_8SequenceIJLi0EEEEEEENS2_IJNSE_IJLi1ELi2ELi3EEEEEEESH_NS4_IlLl8216EEEEENS1_INS2_IJNS3_INS2_IJS5_NS4_IiLi128EEES7_EEENS2_IJNS4_IiLi1032EEES7_SA_EEELb0EEEEEESG_SI_SH_NS4_IlLl4120EEEEELi32ELi32ELi4ELi2ELi8EDF16_DF16_E6MWavesE,"aG",@progbits,_ZN2ck51BlockwiseGemmXdlops_k0mk1_k0nk1_m0n0m1n1m2m3m4n2_v1ILi256EDF16_DF16_fNS_16TensorDescriptorINS_5TupleIJNS_5EmbedINS2_IJNS_17integral_constantIiLi4EEENS4_IiLi256EEENS4_IiLi8EEEEEENS2_IJNS4_IiLi2056EEES7_NS4_IiLi1EEEEEELb0EEEEEENS2_IJNS_8SequenceIJLi0EEEEEEENS2_IJNSE_IJLi1ELi2ELi3EEEEEEESH_NS4_IlLl8216EEEEENS1_INS2_IJNS3_INS2_IJS5_NS4_IiLi128EEES7_EEENS2_IJNS4_IiLi1032EEES7_SA_EEELb0EEEEEESG_SI_SH_NS4_IlLl4120EEEEELi32ELi32ELi4ELi2ELi8EDF16_DF16_E6MWavesE,comdat
	.weak	_ZN2ck51BlockwiseGemmXdlops_k0mk1_k0nk1_m0n0m1n1m2m3m4n2_v1ILi256EDF16_DF16_fNS_16TensorDescriptorINS_5TupleIJNS_5EmbedINS2_IJNS_17integral_constantIiLi4EEENS4_IiLi256EEENS4_IiLi8EEEEEENS2_IJNS4_IiLi2056EEES7_NS4_IiLi1EEEEEELb0EEEEEENS2_IJNS_8SequenceIJLi0EEEEEEENS2_IJNSE_IJLi1ELi2ELi3EEEEEEESH_NS4_IlLl8216EEEEENS1_INS2_IJNS3_INS2_IJS5_NS4_IiLi128EEES7_EEENS2_IJNS4_IiLi1032EEES7_SA_EEELb0EEEEEESG_SI_SH_NS4_IlLl4120EEEEELi32ELi32ELi4ELi2ELi8EDF16_DF16_E6MWavesE
	.p2align	2, 0x0
_ZN2ck51BlockwiseGemmXdlops_k0mk1_k0nk1_m0n0m1n1m2m3m4n2_v1ILi256EDF16_DF16_fNS_16TensorDescriptorINS_5TupleIJNS_5EmbedINS2_IJNS_17integral_constantIiLi4EEENS4_IiLi256EEENS4_IiLi8EEEEEENS2_IJNS4_IiLi2056EEES7_NS4_IiLi1EEEEEELb0EEEEEENS2_IJNS_8SequenceIJLi0EEEEEEENS2_IJNSE_IJLi1ELi2ELi3EEEEEEESH_NS4_IlLl8216EEEEENS1_INS2_IJNS3_INS2_IJS5_NS4_IiLi128EEES7_EEENS2_IJNS4_IiLi1032EEES7_SA_EEELb0EEEEEESG_SI_SH_NS4_IlLl4120EEEEELi32ELi32ELi4ELi2ELi8EDF16_DF16_E6MWavesE:
	.long	2                               ; 0x2
	.size	_ZN2ck51BlockwiseGemmXdlops_k0mk1_k0nk1_m0n0m1n1m2m3m4n2_v1ILi256EDF16_DF16_fNS_16TensorDescriptorINS_5TupleIJNS_5EmbedINS2_IJNS_17integral_constantIiLi4EEENS4_IiLi256EEENS4_IiLi8EEEEEENS2_IJNS4_IiLi2056EEES7_NS4_IiLi1EEEEEELb0EEEEEENS2_IJNS_8SequenceIJLi0EEEEEEENS2_IJNSE_IJLi1ELi2ELi3EEEEEEESH_NS4_IlLl8216EEEEENS1_INS2_IJNS3_INS2_IJS5_NS4_IiLi128EEES7_EEENS2_IJNS4_IiLi1032EEES7_SA_EEELb0EEEEEESG_SI_SH_NS4_IlLl4120EEEEELi32ELi32ELi4ELi2ELi8EDF16_DF16_E6MWavesE, 4

	.protected	_ZN2ck51BlockwiseGemmXdlops_k0mk1_k0nk1_m0n0m1n1m2m3m4n2_v1ILi256EDF16_DF16_fNS_16TensorDescriptorINS_5TupleIJNS_5EmbedINS2_IJNS_17integral_constantIiLi4EEENS4_IiLi256EEENS4_IiLi8EEEEEENS2_IJNS4_IiLi2056EEES7_NS4_IiLi1EEEEEELb0EEEEEENS2_IJNS_8SequenceIJLi0EEEEEEENS2_IJNSE_IJLi1ELi2ELi3EEEEEEESH_NS4_IlLl8216EEEEENS1_INS2_IJNS3_INS2_IJS5_NS4_IiLi128EEES7_EEENS2_IJNS4_IiLi1032EEES7_SA_EEELb0EEEEEESG_SI_SH_NS4_IlLl4120EEEEELi32ELi32ELi4ELi2ELi8EDF16_DF16_E6NWavesE ; @_ZN2ck51BlockwiseGemmXdlops_k0mk1_k0nk1_m0n0m1n1m2m3m4n2_v1ILi256EDF16_DF16_fNS_16TensorDescriptorINS_5TupleIJNS_5EmbedINS2_IJNS_17integral_constantIiLi4EEENS4_IiLi256EEENS4_IiLi8EEEEEENS2_IJNS4_IiLi2056EEES7_NS4_IiLi1EEEEEELb0EEEEEENS2_IJNS_8SequenceIJLi0EEEEEEENS2_IJNSE_IJLi1ELi2ELi3EEEEEEESH_NS4_IlLl8216EEEEENS1_INS2_IJNS3_INS2_IJS5_NS4_IiLi128EEES7_EEENS2_IJNS4_IiLi1032EEES7_SA_EEELb0EEEEEESG_SI_SH_NS4_IlLl4120EEEEELi32ELi32ELi4ELi2ELi8EDF16_DF16_E6NWavesE
	.type	_ZN2ck51BlockwiseGemmXdlops_k0mk1_k0nk1_m0n0m1n1m2m3m4n2_v1ILi256EDF16_DF16_fNS_16TensorDescriptorINS_5TupleIJNS_5EmbedINS2_IJNS_17integral_constantIiLi4EEENS4_IiLi256EEENS4_IiLi8EEEEEENS2_IJNS4_IiLi2056EEES7_NS4_IiLi1EEEEEELb0EEEEEENS2_IJNS_8SequenceIJLi0EEEEEEENS2_IJNSE_IJLi1ELi2ELi3EEEEEEESH_NS4_IlLl8216EEEEENS1_INS2_IJNS3_INS2_IJS5_NS4_IiLi128EEES7_EEENS2_IJNS4_IiLi1032EEES7_SA_EEELb0EEEEEESG_SI_SH_NS4_IlLl4120EEEEELi32ELi32ELi4ELi2ELi8EDF16_DF16_E6NWavesE,@object
	.section	.rodata._ZN2ck51BlockwiseGemmXdlops_k0mk1_k0nk1_m0n0m1n1m2m3m4n2_v1ILi256EDF16_DF16_fNS_16TensorDescriptorINS_5TupleIJNS_5EmbedINS2_IJNS_17integral_constantIiLi4EEENS4_IiLi256EEENS4_IiLi8EEEEEENS2_IJNS4_IiLi2056EEES7_NS4_IiLi1EEEEEELb0EEEEEENS2_IJNS_8SequenceIJLi0EEEEEEENS2_IJNSE_IJLi1ELi2ELi3EEEEEEESH_NS4_IlLl8216EEEEENS1_INS2_IJNS3_INS2_IJS5_NS4_IiLi128EEES7_EEENS2_IJNS4_IiLi1032EEES7_SA_EEELb0EEEEEESG_SI_SH_NS4_IlLl4120EEEEELi32ELi32ELi4ELi2ELi8EDF16_DF16_E6NWavesE,"aG",@progbits,_ZN2ck51BlockwiseGemmXdlops_k0mk1_k0nk1_m0n0m1n1m2m3m4n2_v1ILi256EDF16_DF16_fNS_16TensorDescriptorINS_5TupleIJNS_5EmbedINS2_IJNS_17integral_constantIiLi4EEENS4_IiLi256EEENS4_IiLi8EEEEEENS2_IJNS4_IiLi2056EEES7_NS4_IiLi1EEEEEELb0EEEEEENS2_IJNS_8SequenceIJLi0EEEEEEENS2_IJNSE_IJLi1ELi2ELi3EEEEEEESH_NS4_IlLl8216EEEEENS1_INS2_IJNS3_INS2_IJS5_NS4_IiLi128EEES7_EEENS2_IJNS4_IiLi1032EEES7_SA_EEELb0EEEEEESG_SI_SH_NS4_IlLl4120EEEEELi32ELi32ELi4ELi2ELi8EDF16_DF16_E6NWavesE,comdat
	.weak	_ZN2ck51BlockwiseGemmXdlops_k0mk1_k0nk1_m0n0m1n1m2m3m4n2_v1ILi256EDF16_DF16_fNS_16TensorDescriptorINS_5TupleIJNS_5EmbedINS2_IJNS_17integral_constantIiLi4EEENS4_IiLi256EEENS4_IiLi8EEEEEENS2_IJNS4_IiLi2056EEES7_NS4_IiLi1EEEEEELb0EEEEEENS2_IJNS_8SequenceIJLi0EEEEEEENS2_IJNSE_IJLi1ELi2ELi3EEEEEEESH_NS4_IlLl8216EEEEENS1_INS2_IJNS3_INS2_IJS5_NS4_IiLi128EEES7_EEENS2_IJNS4_IiLi1032EEES7_SA_EEELb0EEEEEESG_SI_SH_NS4_IlLl4120EEEEELi32ELi32ELi4ELi2ELi8EDF16_DF16_E6NWavesE
	.p2align	2, 0x0
_ZN2ck51BlockwiseGemmXdlops_k0mk1_k0nk1_m0n0m1n1m2m3m4n2_v1ILi256EDF16_DF16_fNS_16TensorDescriptorINS_5TupleIJNS_5EmbedINS2_IJNS_17integral_constantIiLi4EEENS4_IiLi256EEENS4_IiLi8EEEEEENS2_IJNS4_IiLi2056EEES7_NS4_IiLi1EEEEEELb0EEEEEENS2_IJNS_8SequenceIJLi0EEEEEEENS2_IJNSE_IJLi1ELi2ELi3EEEEEEESH_NS4_IlLl8216EEEEENS1_INS2_IJNS3_INS2_IJS5_NS4_IiLi128EEES7_EEENS2_IJNS4_IiLi1032EEES7_SA_EEELb0EEEEEESG_SI_SH_NS4_IlLl4120EEEEELi32ELi32ELi4ELi2ELi8EDF16_DF16_E6NWavesE:
	.long	2                               ; 0x2
	.size	_ZN2ck51BlockwiseGemmXdlops_k0mk1_k0nk1_m0n0m1n1m2m3m4n2_v1ILi256EDF16_DF16_fNS_16TensorDescriptorINS_5TupleIJNS_5EmbedINS2_IJNS_17integral_constantIiLi4EEENS4_IiLi256EEENS4_IiLi8EEEEEENS2_IJNS4_IiLi2056EEES7_NS4_IiLi1EEEEEELb0EEEEEENS2_IJNS_8SequenceIJLi0EEEEEEENS2_IJNSE_IJLi1ELi2ELi3EEEEEEESH_NS4_IlLl8216EEEEENS1_INS2_IJNS3_INS2_IJS5_NS4_IiLi128EEES7_EEENS2_IJNS4_IiLi1032EEES7_SA_EEELb0EEEEEESG_SI_SH_NS4_IlLl4120EEEEELi32ELi32ELi4ELi2ELi8EDF16_DF16_E6NWavesE, 4

	.type	__hip_cuid_feacd7aaa8047f67,@object ; @__hip_cuid_feacd7aaa8047f67
	.section	.bss,"aw",@nobits
	.globl	__hip_cuid_feacd7aaa8047f67
__hip_cuid_feacd7aaa8047f67:
	.byte	0                               ; 0x0
	.size	__hip_cuid_feacd7aaa8047f67, 1

	.ident	"AMD clang version 19.0.0git (https://github.com/RadeonOpenCompute/llvm-project roc-6.4.0 25133 c7fe45cf4b819c5991fe208aaa96edf142730f1d)"
	.section	".note.GNU-stack","",@progbits
	.addrsig
	.addrsig_sym __hip_cuid_feacd7aaa8047f67
	.amdgpu_metadata
---
amdhsa.kernels:
  - .agpr_count:     0
    .args:           []
    .group_segment_fixed_size: 0
    .kernarg_segment_align: 4
    .kernarg_segment_size: 0
    .language:       OpenCL C
    .language_version:
      - 2
      - 0
    .max_flat_workgroup_size: 1024
    .name:           _ZN2ckL12flush_icacheEv
    .private_segment_fixed_size: 0
    .sgpr_count:     4
    .sgpr_spill_count: 0
    .symbol:         _ZN2ckL12flush_icacheEv.kd
    .uniform_work_group_size: 1
    .uses_dynamic_stack: false
    .vgpr_count:     0
    .vgpr_spill_count: 0
    .wavefront_size: 64
  - .agpr_count:     0
    .args:
      - .address_space:  global
        .offset:         0
        .size:           8
        .value_kind:     global_buffer
      - .address_space:  global
        .offset:         8
        .size:           8
        .value_kind:     global_buffer
      - .address_space:  global
        .offset:         16
        .size:           8
        .value_kind:     global_buffer
      - .offset:         24
        .size:           4
        .value_kind:     by_value
      - .offset:         28
        .size:           4
        .value_kind:     by_value
      - .offset:         32
        .size:           4
        .value_kind:     by_value
      - .offset:         36
        .size:           3
        .value_kind:     by_value
      - .offset:         39
        .size:           37
        .value_kind:     by_value
    .group_segment_fixed_size: 24600
    .kernarg_segment_align: 8
    .kernarg_segment_size: 76
    .language:       OpenCL C
    .language_version:
      - 2
      - 0
    .max_flat_workgroup_size: 256
    .name:           _Z10DeviceGemmIDF16_N2ck7wrapper48BlockwisGemmXdlTraits_32x32Xdl_4x2XdlPerWave_8K1ELi8ENS0_5TupleIJNS0_17integral_constantIiLi256EEENS4_IiLi128EEENS4_IiLi32EEEEEENS1_6LayoutINS3_IJNS4_IiLi4EEENS4_IiLi64EEENS4_IiLi1EEEEEENS0_16TensorDescriptorINS3_IJNS0_5EmbedISD_NS3_IJSC_SA_SC_EEELb0EEEEEENS3_IJNS0_8SequenceIJLi0EEEEEEENS3_IJNSJ_IJLi1ELi2ELi3EEEEEEESM_NS4_IlLl256EEEEEEELb0EEvPKvSS_PviiiT2_T3_
    .private_segment_fixed_size: 0
    .sgpr_count:     30
    .sgpr_spill_count: 0
    .symbol:         _Z10DeviceGemmIDF16_N2ck7wrapper48BlockwisGemmXdlTraits_32x32Xdl_4x2XdlPerWave_8K1ELi8ENS0_5TupleIJNS0_17integral_constantIiLi256EEENS4_IiLi128EEENS4_IiLi32EEEEEENS1_6LayoutINS3_IJNS4_IiLi4EEENS4_IiLi64EEENS4_IiLi1EEEEEENS0_16TensorDescriptorINS3_IJNS0_5EmbedISD_NS3_IJSC_SA_SC_EEELb0EEEEEENS3_IJNS0_8SequenceIJLi0EEEEEEENS3_IJNSJ_IJLi1ELi2ELi3EEEEEEESM_NS4_IlLl256EEEEEEELb0EEvPKvSS_PviiiT2_T3_.kd
    .uniform_work_group_size: 1
    .uses_dynamic_stack: false
    .vgpr_count:     188
    .vgpr_spill_count: 0
    .wavefront_size: 64
amdhsa.target:   amdgcn-amd-amdhsa--gfx90a
amdhsa.version:
  - 1
  - 2
...

	.end_amdgpu_metadata
